;; amdgpu-corpus repo=ROCm/rocFFT kind=compiled arch=gfx950 opt=O3
	.text
	.amdgcn_target "amdgcn-amd-amdhsa--gfx950"
	.amdhsa_code_object_version 6
	.protected	fft_rtc_back_len117_factors_13_9_wgs_52_tpt_13_halfLds_half_op_CI_CI_unitstride_sbrr_dirReg ; -- Begin function fft_rtc_back_len117_factors_13_9_wgs_52_tpt_13_halfLds_half_op_CI_CI_unitstride_sbrr_dirReg
	.globl	fft_rtc_back_len117_factors_13_9_wgs_52_tpt_13_halfLds_half_op_CI_CI_unitstride_sbrr_dirReg
	.p2align	8
	.type	fft_rtc_back_len117_factors_13_9_wgs_52_tpt_13_halfLds_half_op_CI_CI_unitstride_sbrr_dirReg,@function
fft_rtc_back_len117_factors_13_9_wgs_52_tpt_13_halfLds_half_op_CI_CI_unitstride_sbrr_dirReg: ; @fft_rtc_back_len117_factors_13_9_wgs_52_tpt_13_halfLds_half_op_CI_CI_unitstride_sbrr_dirReg
; %bb.0:
	s_load_dwordx4 s[4:7], s[0:1], 0x58
	s_load_dwordx4 s[8:11], s[0:1], 0x0
	;; [unrolled: 1-line block ×3, first 2 shown]
	v_mul_u32_u24_e32 v1, 0x13b2, v0
	v_lshrrev_b32_e32 v16, 16, v1
	v_lshl_add_u32 v10, s2, 2, v16
	v_mov_b32_e32 v6, 0
	s_waitcnt lgkmcnt(0)
	v_cmp_lt_u64_e64 s[2:3], s[10:11], 2
	v_mov_b32_e32 v11, v6
	s_and_b64 vcc, exec, s[2:3]
	v_mov_b64_e32 v[8:9], 0
	s_cbranch_vccnz .LBB0_8
; %bb.1:
	s_load_dwordx2 s[2:3], s[0:1], 0x10
	s_add_u32 s16, s14, 8
	s_addc_u32 s17, s15, 0
	s_add_u32 s18, s12, 8
	s_addc_u32 s19, s13, 0
	s_waitcnt lgkmcnt(0)
	s_add_u32 s20, s2, 8
	v_mov_b64_e32 v[8:9], 0
	s_addc_u32 s21, s3, 0
	s_mov_b64 s[22:23], 1
	v_mov_b64_e32 v[2:3], v[8:9]
.LBB0_2:                                ; =>This Inner Loop Header: Depth=1
	s_load_dwordx2 s[24:25], s[20:21], 0x0
                                        ; implicit-def: $vgpr4_vgpr5
	s_waitcnt lgkmcnt(0)
	v_or_b32_e32 v7, s25, v11
	v_cmp_ne_u64_e32 vcc, 0, v[6:7]
	s_and_saveexec_b64 s[2:3], vcc
	s_xor_b64 s[26:27], exec, s[2:3]
	s_cbranch_execz .LBB0_4
; %bb.3:                                ;   in Loop: Header=BB0_2 Depth=1
	v_cvt_f32_u32_e32 v1, s24
	v_cvt_f32_u32_e32 v4, s25
	s_sub_u32 s2, 0, s24
	s_subb_u32 s3, 0, s25
	v_fmac_f32_e32 v1, 0x4f800000, v4
	v_rcp_f32_e32 v1, v1
	s_nop 0
	v_mul_f32_e32 v1, 0x5f7ffffc, v1
	v_mul_f32_e32 v4, 0x2f800000, v1
	v_trunc_f32_e32 v4, v4
	v_fmac_f32_e32 v1, 0xcf800000, v4
	v_cvt_u32_f32_e32 v7, v4
	v_cvt_u32_f32_e32 v1, v1
	v_mul_lo_u32 v4, s2, v7
	v_mul_hi_u32 v12, s2, v1
	v_mul_lo_u32 v5, s3, v1
	v_add_u32_e32 v12, v12, v4
	v_mul_lo_u32 v14, s2, v1
	v_add_u32_e32 v15, v12, v5
	v_mul_hi_u32 v4, v1, v14
	v_mul_hi_u32 v13, v1, v15
	v_mul_lo_u32 v12, v1, v15
	v_mov_b32_e32 v5, v6
	v_lshl_add_u64 v[4:5], v[4:5], 0, v[12:13]
	v_mul_hi_u32 v13, v7, v14
	v_mul_lo_u32 v14, v7, v14
	v_add_co_u32_e32 v4, vcc, v4, v14
	v_mul_hi_u32 v12, v7, v15
	s_nop 0
	v_addc_co_u32_e32 v4, vcc, v5, v13, vcc
	v_mov_b32_e32 v5, v6
	s_nop 0
	v_addc_co_u32_e32 v13, vcc, 0, v12, vcc
	v_mul_lo_u32 v12, v7, v15
	v_lshl_add_u64 v[4:5], v[4:5], 0, v[12:13]
	v_add_co_u32_e32 v1, vcc, v1, v4
	v_mul_lo_u32 v12, s2, v1
	s_nop 0
	v_addc_co_u32_e32 v7, vcc, v7, v5, vcc
	v_mul_lo_u32 v4, s2, v7
	v_mul_hi_u32 v5, s2, v1
	v_add_u32_e32 v4, v5, v4
	v_mul_lo_u32 v5, s3, v1
	v_add_u32_e32 v14, v4, v5
	v_mul_hi_u32 v17, v7, v12
	v_mul_lo_u32 v18, v7, v12
	v_mul_hi_u32 v5, v1, v14
	v_mul_lo_u32 v4, v1, v14
	v_mul_hi_u32 v12, v1, v12
	v_mov_b32_e32 v13, v6
	v_lshl_add_u64 v[4:5], v[12:13], 0, v[4:5]
	v_add_co_u32_e32 v4, vcc, v4, v18
	v_mul_hi_u32 v15, v7, v14
	s_nop 0
	v_addc_co_u32_e32 v4, vcc, v5, v17, vcc
	v_mul_lo_u32 v12, v7, v14
	s_nop 0
	v_addc_co_u32_e32 v13, vcc, 0, v15, vcc
	v_mov_b32_e32 v5, v6
	v_lshl_add_u64 v[4:5], v[4:5], 0, v[12:13]
	v_add_co_u32_e32 v1, vcc, v1, v4
	v_mul_hi_u32 v12, v10, v1
	s_nop 0
	v_addc_co_u32_e32 v7, vcc, v7, v5, vcc
	v_mad_u64_u32 v[4:5], s[2:3], v10, v7, 0
	v_mov_b32_e32 v13, v6
	v_lshl_add_u64 v[4:5], v[12:13], 0, v[4:5]
	v_mad_u64_u32 v[14:15], s[2:3], v11, v1, 0
	v_add_co_u32_e32 v1, vcc, v4, v14
	v_mad_u64_u32 v[12:13], s[2:3], v11, v7, 0
	s_nop 0
	v_addc_co_u32_e32 v4, vcc, v5, v15, vcc
	v_mov_b32_e32 v5, v6
	s_nop 0
	v_addc_co_u32_e32 v13, vcc, 0, v13, vcc
	v_lshl_add_u64 v[4:5], v[4:5], 0, v[12:13]
	v_mul_lo_u32 v1, s25, v4
	v_mul_lo_u32 v7, s24, v5
	v_mad_u64_u32 v[12:13], s[2:3], s24, v4, 0
	v_add3_u32 v1, v13, v7, v1
	v_sub_u32_e32 v7, v11, v1
	v_mov_b32_e32 v13, s25
	v_sub_co_u32_e32 v17, vcc, v10, v12
	v_lshl_add_u64 v[14:15], v[4:5], 0, 1
	s_nop 0
	v_subb_co_u32_e64 v7, s[2:3], v7, v13, vcc
	v_subrev_co_u32_e64 v12, s[2:3], s24, v17
	v_subb_co_u32_e32 v1, vcc, v11, v1, vcc
	s_nop 0
	v_subbrev_co_u32_e64 v7, s[2:3], 0, v7, s[2:3]
	v_cmp_le_u32_e64 s[2:3], s25, v7
	v_cmp_le_u32_e32 vcc, s25, v1
	s_nop 0
	v_cndmask_b32_e64 v13, 0, -1, s[2:3]
	v_cmp_le_u32_e64 s[2:3], s24, v12
	s_nop 1
	v_cndmask_b32_e64 v12, 0, -1, s[2:3]
	v_cmp_eq_u32_e64 s[2:3], s25, v7
	s_nop 1
	v_cndmask_b32_e64 v7, v13, v12, s[2:3]
	v_lshl_add_u64 v[12:13], v[4:5], 0, 2
	v_cmp_ne_u32_e64 s[2:3], 0, v7
	s_nop 1
	v_cndmask_b32_e64 v7, v15, v13, s[2:3]
	v_cndmask_b32_e64 v13, 0, -1, vcc
	v_cmp_le_u32_e32 vcc, s24, v17
	s_nop 1
	v_cndmask_b32_e64 v15, 0, -1, vcc
	v_cmp_eq_u32_e32 vcc, s25, v1
	s_nop 1
	v_cndmask_b32_e32 v1, v13, v15, vcc
	v_cmp_ne_u32_e32 vcc, 0, v1
	v_cndmask_b32_e64 v1, v14, v12, s[2:3]
	s_nop 0
	v_cndmask_b32_e32 v5, v5, v7, vcc
	v_cndmask_b32_e32 v4, v4, v1, vcc
.LBB0_4:                                ;   in Loop: Header=BB0_2 Depth=1
	s_andn2_saveexec_b64 s[2:3], s[26:27]
	s_cbranch_execz .LBB0_6
; %bb.5:                                ;   in Loop: Header=BB0_2 Depth=1
	v_cvt_f32_u32_e32 v1, s24
	s_sub_i32 s26, 0, s24
	v_rcp_iflag_f32_e32 v1, v1
	s_nop 0
	v_mul_f32_e32 v1, 0x4f7ffffe, v1
	v_cvt_u32_f32_e32 v1, v1
	v_mul_lo_u32 v4, s26, v1
	v_mul_hi_u32 v4, v1, v4
	v_add_u32_e32 v1, v1, v4
	v_mul_hi_u32 v1, v10, v1
	v_mul_lo_u32 v4, v1, s24
	v_sub_u32_e32 v4, v10, v4
	v_add_u32_e32 v5, 1, v1
	v_subrev_u32_e32 v7, s24, v4
	v_cmp_le_u32_e32 vcc, s24, v4
	s_nop 1
	v_cndmask_b32_e32 v4, v4, v7, vcc
	v_cndmask_b32_e32 v1, v1, v5, vcc
	v_add_u32_e32 v5, 1, v1
	v_cmp_le_u32_e32 vcc, s24, v4
	s_nop 1
	v_cndmask_b32_e32 v4, v1, v5, vcc
	v_mov_b32_e32 v5, v6
.LBB0_6:                                ;   in Loop: Header=BB0_2 Depth=1
	s_or_b64 exec, exec, s[2:3]
	v_mad_u64_u32 v[12:13], s[2:3], v4, s24, 0
	s_load_dwordx2 s[2:3], s[18:19], 0x0
	v_mul_lo_u32 v1, v5, s24
	v_mul_lo_u32 v7, v4, s25
	s_load_dwordx2 s[24:25], s[16:17], 0x0
	s_add_u32 s22, s22, 1
	v_add3_u32 v1, v13, v7, v1
	v_sub_co_u32_e32 v7, vcc, v10, v12
	s_addc_u32 s23, s23, 0
	s_nop 0
	v_subb_co_u32_e32 v1, vcc, v11, v1, vcc
	s_add_u32 s16, s16, 8
	s_waitcnt lgkmcnt(0)
	v_mul_lo_u32 v10, s2, v1
	v_mul_lo_u32 v11, s3, v7
	v_mad_u64_u32 v[8:9], s[2:3], s2, v7, v[8:9]
	s_addc_u32 s17, s17, 0
	v_add3_u32 v9, v11, v9, v10
	v_mul_lo_u32 v1, s24, v1
	v_mul_lo_u32 v10, s25, v7
	v_mad_u64_u32 v[2:3], s[2:3], s24, v7, v[2:3]
	s_add_u32 s18, s18, 8
	v_add3_u32 v3, v10, v3, v1
	s_addc_u32 s19, s19, 0
	v_mov_b64_e32 v[10:11], s[10:11]
	s_add_u32 s20, s20, 8
	v_cmp_ge_u64_e32 vcc, s[22:23], v[10:11]
	s_addc_u32 s21, s21, 0
	s_cbranch_vccnz .LBB0_9
; %bb.7:                                ;   in Loop: Header=BB0_2 Depth=1
	v_mov_b64_e32 v[10:11], v[4:5]
	s_branch .LBB0_2
.LBB0_8:
	v_mov_b64_e32 v[2:3], v[8:9]
	v_mov_b64_e32 v[4:5], v[10:11]
.LBB0_9:
	s_load_dwordx2 s[0:1], s[0:1], 0x28
	s_lshl_b64 s[16:17], s[10:11], 3
	s_add_u32 s2, s14, s16
	s_addc_u32 s3, s15, s17
	s_load_dwordx2 s[2:3], s[2:3], 0x0
	s_waitcnt lgkmcnt(0)
	v_cmp_gt_u64_e32 vcc, s[0:1], v[4:5]
	s_mov_b32 s0, 0x13b13b14
	v_mul_hi_u32 v1, v0, s0
	v_mul_u32_u24_e32 v1, 13, v1
	v_sub_u32_e32 v6, v0, v1
	v_mov_b32_e32 v1, 0
	v_mov_b32_e32 v0, 0
	;; [unrolled: 1-line block ×3, first 2 shown]
                                        ; implicit-def: $vgpr33
                                        ; implicit-def: $vgpr20
                                        ; implicit-def: $vgpr29
                                        ; implicit-def: $vgpr15
                                        ; implicit-def: $vgpr26
                                        ; implicit-def: $vgpr14
                                        ; implicit-def: $vgpr24
                                        ; implicit-def: $vgpr12
                                        ; implicit-def: $vgpr21
                                        ; implicit-def: $vgpr11
                                        ; implicit-def: $vgpr17
                                        ; implicit-def: $vgpr7
                                        ; implicit-def: $vgpr19
                                        ; implicit-def: $vgpr10
                                        ; implicit-def: $vgpr22
                                        ; implicit-def: $vgpr13
                                        ; implicit-def: $vgpr34
                                        ; implicit-def: $vgpr31
                                        ; implicit-def: $vgpr32
                                        ; implicit-def: $vgpr27
                                        ; implicit-def: $vgpr28
                                        ; implicit-def: $vgpr23
                                        ; implicit-def: $vgpr25
                                        ; implicit-def: $vgpr18
	s_and_saveexec_b64 s[10:11], vcc
	s_cbranch_execz .LBB0_13
; %bb.10:
	v_cmp_gt_u32_e64 s[0:1], 9, v6
	v_mov_b32_e32 v30, 0
	v_mov_b32_e32 v1, 0
                                        ; implicit-def: $vgpr18
                                        ; implicit-def: $vgpr25
                                        ; implicit-def: $vgpr23
                                        ; implicit-def: $vgpr28
                                        ; implicit-def: $vgpr27
                                        ; implicit-def: $vgpr32
                                        ; implicit-def: $vgpr31
                                        ; implicit-def: $vgpr34
                                        ; implicit-def: $vgpr13
                                        ; implicit-def: $vgpr22
                                        ; implicit-def: $vgpr10
                                        ; implicit-def: $vgpr19
                                        ; implicit-def: $vgpr7
                                        ; implicit-def: $vgpr17
                                        ; implicit-def: $vgpr11
                                        ; implicit-def: $vgpr21
                                        ; implicit-def: $vgpr12
                                        ; implicit-def: $vgpr24
                                        ; implicit-def: $vgpr14
                                        ; implicit-def: $vgpr26
                                        ; implicit-def: $vgpr15
                                        ; implicit-def: $vgpr29
                                        ; implicit-def: $vgpr20
                                        ; implicit-def: $vgpr33
	s_and_saveexec_b64 s[14:15], s[0:1]
	s_cbranch_execz .LBB0_12
; %bb.11:
	s_add_u32 s0, s12, s16
	s_addc_u32 s1, s13, s17
	s_load_dwordx2 s[0:1], s[0:1], 0x0
	v_mov_b32_e32 v7, 0
	s_waitcnt lgkmcnt(0)
	v_mul_lo_u32 v10, s1, v4
	v_mul_lo_u32 v11, s0, v5
	v_mad_u64_u32 v[0:1], s[0:1], s0, v4, 0
	v_add3_u32 v1, v1, v11, v10
	v_lshl_add_u64 v[0:1], v[0:1], 2, s[4:5]
	v_lshl_add_u64 v[0:1], v[8:9], 2, v[0:1]
	;; [unrolled: 1-line block ×3, first 2 shown]
	global_load_dword v30, v[0:1], off
	global_load_dword v20, v[0:1], off offset:36
	global_load_dword v15, v[0:1], off offset:72
	;; [unrolled: 1-line block ×12, first 2 shown]
	s_waitcnt vmcnt(12)
	v_lshrrev_b32_e32 v1, 16, v30
	s_waitcnt vmcnt(11)
	v_lshrrev_b32_e32 v33, 16, v20
	;; [unrolled: 2-line block ×13, first 2 shown]
.LBB0_12:
	s_or_b64 exec, exec, s[14:15]
	v_mov_b32_e32 v0, v6
.LBB0_13:
	s_or_b64 exec, exec, s[10:11]
	v_and_b32_e32 v8, 3, v16
	v_mul_u32_u24_e32 v8, 0x75, v8
	v_cmp_gt_u32_e64 s[0:1], 9, v6
	v_lshlrev_b32_e32 v8, 1, v8
	s_and_saveexec_b64 s[4:5], s[0:1]
	s_cbranch_execz .LBB0_15
; %bb.14:
	v_add_f16_e32 v9, v20, v31
	v_sub_f16_e32 v16, v33, v34
	v_add_f16_e32 v35, v15, v27
	v_mul_f16_e32 v48, 0x2fb7, v9
	s_mov_b32 s13, 0xbbf1
	s_mov_b32 s10, 0xb3a8
	v_sub_f16_e32 v39, v29, v32
	v_add_f16_e32 v40, v14, v23
	v_mul_f16_e32 v49, 0xbbc4, v35
	v_fma_f16 v36, v16, s13, v48
	v_sub_f16_e32 v41, v26, v28
	v_add_f16_e32 v42, v12, v18
	v_mul_f16_e32 v50, 0xb5ac, v40
	s_movk_i32 s14, 0x3b7b
	v_add_f16_e32 v36, v30, v36
	v_fma_f16 v37, v39, s10, v49
	s_movk_i32 s11, 0x3770
	v_sub_f16_e32 v43, v24, v25
	v_add_f16_e32 v44, v11, v13
	v_mul_f16_e32 v51, 0x3b15, v42
	v_add_f16_e32 v36, v36, v37
	v_fma_f16 v37, v41, s14, v50
	v_sub_f16_e32 v45, v21, v22
	v_add_f16_e32 v46, v7, v10
	v_mul_f16_e32 v52, 0x388b, v44
	s_mov_b32 s15, 0xba95
	v_add_f16_e32 v36, v36, v37
	v_fma_f16 v37, v43, s11, v51
	s_mov_b32 s12, 0xb94e
	v_sub_f16_e32 v47, v17, v19
	v_mul_f16_e32 v53, 0xb9fd, v46
	v_add_f16_e32 v36, v36, v37
	v_fma_f16 v37, v45, s15, v52
	s_mov_b32 s13, 0x388b3b15
	v_add_f16_e32 v36, v37, v36
	v_fma_f16 v37, v47, s12, v53
	v_pk_mul_f16 v54, v9, s13 op_sel_hi:[0,1]
	s_mov_b32 s14, 0xba95b770
	s_mov_b32 s15, 0xb5ac388b
	v_add_f16_e32 v36, v37, v36
	v_pk_mul_f16 v55, v35, s15 op_sel_hi:[0,1]
	s_mov_b32 s16, 0xbb7bba95
	s_mov_b32 s17, 0xbbc42fb7
	v_pk_fma_f16 v37, v16, s14, v54 op_sel_hi:[0,1,1]
	v_pk_mul_f16 v56, v40, s17 op_sel_hi:[0,1]
	s_mov_b32 s18, 0xb3a8bbf1
	s_mov_b32 s19, 0xb9fdb5ac
	v_pk_add_f16 v37, v30, v37 op_sel_hi:[0,1]
	v_pk_fma_f16 v38, v39, s16, v55 op_sel_hi:[0,1,1]
	v_pk_mul_f16 v57, v42, s19 op_sel_hi:[0,1]
	s_mov_b32 s20, 0x394ebb7b
	s_mov_b32 s21, 0x2fb7b9fd
	v_pk_add_f16 v37, v37, v38
	v_pk_fma_f16 v38, v41, s18, v56 op_sel_hi:[0,1,1]
	v_pk_mul_f16 v58, v44, s21 op_sel_hi:[0,1]
	s_mov_b32 s22, 0x3bf1b94e
	s_mov_b32 s23, 0x3b15bbc4
	v_pk_add_f16 v37, v37, v38
	v_pk_fma_f16 v38, v43, s20, v57 op_sel_hi:[0,1,1]
	v_pk_mul_f16 v59, v46, s23 op_sel_hi:[0,1]
	s_mov_b32 s24, 0x3770b3a8
	v_pk_add_f16 v37, v37, v38
	v_pk_fma_f16 v38, v45, s22, v58 op_sel_hi:[0,1,1]
	v_pk_add_f16 v37, v38, v37
	v_pk_fma_f16 v38, v47, s24, v59 op_sel_hi:[0,1,1]
	v_pk_mul_f16 v61, v9, s19 op_sel_hi:[0,1]
	s_mov_b32 s19, 0xb94ebb7b
	v_pk_add_f16 v60, v38, v37
	v_pk_mul_f16 v62, v35, s21 op_sel_hi:[0,1]
	s_mov_b32 s21, 0x3bf1394e
	v_pk_fma_f16 v37, v16, s19, v61 op_sel_hi:[0,1,1]
	v_pk_mul_f16 v63, v40, s13 op_sel_hi:[0,1]
	s_mov_b32 s13, 0xba953770
	v_pk_add_f16 v37, v30, v37 op_sel_hi:[0,1]
	v_pk_fma_f16 v38, v39, s21, v62 op_sel_hi:[0,1,1]
	v_pk_mul_f16 v64, v42, s17 op_sel_hi:[0,1]
	s_mov_b32 s17, 0x33a8bbf1
	v_pk_add_f16 v37, v37, v38
	v_pk_fma_f16 v38, v41, s13, v63 op_sel_hi:[0,1,1]
	v_pk_add_f16 v37, v37, v38
	v_pk_fma_f16 v38, v43, s17, v64 op_sel_hi:[0,1,1]
	v_pk_mul_f16 v65, v44, s23 op_sel_hi:[0,1]
	s_mov_b32 s23, 0x377033a8
	v_pk_add_f16 v37, v37, v38
	v_pk_fma_f16 v38, v45, s23, v65 op_sel_hi:[0,1,1]
	s_mov_b32 s25, 0xbb7b3a95
	v_pk_mul_f16 v66, v46, s15 op_sel_hi:[0,1]
	v_pk_add_f16 v37, v38, v37
	v_pk_fma_f16 v38, v47, s25, v66 op_sel_hi:[0,1,1]
	v_pk_add_f16 v38, v38, v37
	v_alignbit_b32 v37, v36, v60, 16
	v_add_f16_e32 v36, v30, v20
	v_add_f16_e32 v36, v36, v15
	;; [unrolled: 1-line block ×12, first 2 shown]
	v_pack_b32_f16 v36, v36, v60
	v_mul_u32_u24_e32 v60, 26, v6
	v_add3_u32 v60, 0, v60, v8
	v_mul_f16_e32 v9, 0xbbc4, v9
	ds_write_b96 v60, v[36:38]
	v_mul_f16_e32 v35, 0x3b15, v35
	v_fma_f16 v36, v16, s10, v9
	v_add_f16_e32 v36, v30, v36
	v_fma_f16 v37, v39, s11, v35
	v_add_f16_e32 v36, v36, v37
	v_mul_f16_e32 v37, 0xb9fd, v40
	v_fma_f16 v38, v41, s12, v37
	v_add_f16_e32 v36, v36, v38
	v_mul_f16_e32 v38, 0x388b, v42
	s_movk_i32 s10, 0x3a95
	v_fma_f16 v40, v43, s10, v38
	v_add_f16_e32 v36, v36, v40
	v_mul_f16_e32 v40, 0xb5ac, v44
	s_mov_b32 s10, 0xbb7b
	v_fma_f16 v42, v45, s10, v40
	v_add_f16_e32 v36, v42, v36
	v_mul_f16_e32 v42, 0x2fb7, v46
	s_movk_i32 s10, 0x3bf1
	v_fma_f16 v44, v47, s10, v42
	v_add_f16_e32 v36, v44, v36
	v_pk_mul_f16 v44, v16, s14 op_sel_hi:[0,1]
	v_sub_f16_e32 v46, v54, v44
	v_pk_mul_f16 v67, v39, s16 op_sel_hi:[0,1]
	v_add_f16_e32 v46, v30, v46
	v_sub_f16_e32 v68, v55, v67
	v_add_f16_e32 v46, v46, v68
	v_pk_mul_f16 v68, v41, s18 op_sel_hi:[0,1]
	v_sub_f16_e32 v69, v56, v68
	v_add_f16_e32 v46, v46, v69
	v_pk_mul_f16 v69, v43, s20 op_sel_hi:[0,1]
	v_sub_f16_e32 v70, v57, v69
	v_add_f16_e32 v46, v46, v70
	v_pk_mul_f16 v70, v45, s22 op_sel_hi:[0,1]
	v_sub_f16_e32 v71, v58, v70
	v_add_f16_e32 v46, v71, v46
	v_pk_mul_f16 v71, v47, s24 op_sel_hi:[0,1]
	v_sub_f16_e32 v72, v59, v71
	v_add_f16_e32 v46, v72, v46
	v_pk_mul_f16 v72, v16, s19 op_sel_hi:[0,1]
	s_mov_b32 s10, 0xffff
	v_sub_f16_e32 v73, v61, v72
	v_bfi_b32 v9, s10, v9, v61
	v_mul_f16_e32 v61, 0xb3a8, v16
	v_bfi_b32 v61, s10, v61, v72
	v_pk_mul_f16 v74, v39, s21 op_sel_hi:[0,1]
	v_pk_add_f16 v9, v9, v61 neg_lo:[0,1] neg_hi:[0,1]
	v_mul_f16_e32 v61, 0x3770, v39
	v_bfi_b32 v35, s10, v35, v62
	v_bfi_b32 v61, s10, v61, v74
	v_add_f16_e32 v73, v30, v73
	v_sub_f16_e32 v75, v62, v74
	v_pk_add_f16 v35, v35, v61 neg_lo:[0,1] neg_hi:[0,1]
	v_pk_add_f16 v9, v30, v9 op_sel_hi:[0,1]
	v_add_f16_e32 v73, v73, v75
	v_pk_mul_f16 v75, v41, s13 op_sel_hi:[0,1]
	v_pk_add_f16 v9, v9, v35
	v_bfi_b32 v35, s10, v37, v63
	v_mul_f16_e32 v37, 0xb94e, v41
	v_sub_f16_e32 v76, v63, v75
	v_bfi_b32 v37, s10, v37, v75
	v_add_f16_e32 v73, v73, v76
	v_pk_mul_f16 v76, v43, s17 op_sel_hi:[0,1]
	v_pk_add_f16 v35, v35, v37 neg_lo:[0,1] neg_hi:[0,1]
	v_mul_f16_e32 v37, 0x3a95, v43
	v_sub_f16_e32 v77, v64, v76
	v_pk_add_f16 v9, v9, v35
	v_bfi_b32 v35, s10, v38, v64
	v_bfi_b32 v37, s10, v37, v76
	v_add_f16_e32 v73, v73, v77
	v_pk_mul_f16 v77, v45, s23 op_sel_hi:[0,1]
	v_pk_add_f16 v35, v35, v37 neg_lo:[0,1] neg_hi:[0,1]
	v_mul_f16_e32 v37, 0xbb7b, v45
	v_sub_f16_e32 v78, v65, v77
	v_pk_add_f16 v9, v9, v35
	v_bfi_b32 v35, s10, v40, v65
	v_bfi_b32 v37, s10, v37, v77
	v_add_f16_e32 v73, v78, v73
	v_pk_mul_f16 v78, v47, s25 op_sel_hi:[0,1]
	v_pk_add_f16 v35, v35, v37 neg_lo:[0,1] neg_hi:[0,1]
	v_mul_f16_e32 v37, 0x3bf1, v47
	v_pk_add_f16 v9, v35, v9
	v_bfi_b32 v35, s10, v42, v66
	v_bfi_b32 v37, s10, v37, v78
	v_mul_f16_e32 v16, 0xbbf1, v16
	v_pk_add_f16 v35, v35, v37 neg_lo:[0,1] neg_hi:[0,1]
	v_bfi_b32 v16, s10, v16, v44
	v_pk_add_f16 v9, v35, v9
	v_bfi_b32 v35, s10, v48, v54
	v_mul_f16_e32 v38, 0xb3a8, v39
	v_pk_add_f16 v16, v35, v16 neg_lo:[0,1] neg_hi:[0,1]
	v_bfi_b32 v35, s10, v38, v67
	v_pk_add_f16 v16, v30, v16 op_sel_hi:[0,1]
	v_bfi_b32 v30, s10, v49, v55
	v_mul_f16_e32 v39, 0x3b7b, v41
	v_pk_add_f16 v30, v30, v35 neg_lo:[0,1] neg_hi:[0,1]
	v_bfi_b32 v35, s10, v39, v68
	v_pk_add_f16 v16, v16, v30
	v_bfi_b32 v30, s10, v50, v56
	v_mul_f16_e32 v40, 0x3770, v43
	v_pk_add_f16 v30, v30, v35 neg_lo:[0,1] neg_hi:[0,1]
	v_bfi_b32 v35, s10, v40, v69
	v_pk_add_f16 v16, v16, v30
	;; [unrolled: 5-line block ×3, first 2 shown]
	v_bfi_b32 v30, s10, v52, v58
	v_mul_f16_e32 v42, 0xb94e, v47
	v_pk_add_f16 v30, v30, v35 neg_lo:[0,1] neg_hi:[0,1]
	v_sub_f16_e32 v79, v66, v78
	v_pk_add_f16 v16, v30, v16
	v_bfi_b32 v30, s10, v53, v59
	v_bfi_b32 v35, s10, v42, v71
	v_add_f16_e32 v73, v79, v73
	v_pk_add_f16 v30, v30, v35 neg_lo:[0,1] neg_hi:[0,1]
	v_alignbit_b32 v37, v73, v9, 16
	v_pk_add_f16 v38, v30, v16
	v_pack_b32_f16 v36, v36, v9
	ds_write_b96 v60, v[36:38] offset:12
	ds_write_b16 v60, v46 offset:24
.LBB0_15:
	s_or_b64 exec, exec, s[4:5]
	v_lshlrev_b32_e32 v9, 1, v6
	v_add3_u32 v41, 0, v8, v9
	v_add_u32_e32 v43, 0, v9
	s_waitcnt lgkmcnt(0)
	; wave barrier
	s_waitcnt lgkmcnt(0)
	v_add_u32_e32 v42, v43, v8
	ds_read_u16 v9, v41
	ds_read_u16 v16, v42 offset:26
	ds_read_u16 v35, v42 offset:52
	ds_read_u16 v30, v42 offset:78
	ds_read_u16 v38, v42 offset:104
	ds_read_u16 v39, v42 offset:130
	ds_read_u16 v36, v42 offset:156
	ds_read_u16 v40, v42 offset:182
	ds_read_u16 v37, v42 offset:208
	s_waitcnt lgkmcnt(0)
	; wave barrier
	s_waitcnt lgkmcnt(0)
	s_and_saveexec_b64 s[4:5], s[0:1]
	s_cbranch_execz .LBB0_17
; %bb.16:
	v_add_f16_e32 v44, v1, v33
	v_add_f16_e32 v44, v44, v29
	;; [unrolled: 1-line block ×10, first 2 shown]
	v_sub_f16_e32 v20, v20, v31
	v_sub_f16_e32 v15, v15, v27
	v_add_f16_e32 v44, v32, v44
	v_add_f16_e32 v33, v33, v34
	s_mov_b32 s1, 0xbbc4
	v_mul_f16_e32 v47, 0xb3a8, v20
	v_add_f16_e32 v29, v29, v32
	v_mul_f16_e32 v32, 0xb3a8, v15
	v_fma_f16 v48, v33, s1, -v47
	v_fma_f16 v49, v29, s1, -v32
	s_movk_i32 s1, 0x3b15
	v_mul_f16_e32 v50, 0x3770, v15
	v_sub_f16_e32 v14, v14, v23
	v_add_f16_e32 v48, v1, v48
	v_fma_f16 v51, v29, s1, -v50
	v_add_f16_e32 v26, v26, v28
	s_mov_b32 s11, 0xb9fd
	v_mul_f16_e32 v52, 0xb94e, v14
	v_sub_f16_e32 v18, v12, v18
	v_add_f16_e32 v48, v48, v51
	v_fma_f16 v53, v26, s11, -v52
	v_add_f16_e32 v24, v24, v25
	v_mul_f16_e32 v25, 0x3770, v18
	v_add_f16_e32 v48, v48, v53
	v_fma_f16 v53, v24, s1, -v25
	s_movk_i32 s1, 0x388b
	v_mul_f16_e32 v54, 0x3a95, v18
	v_sub_f16_e32 v11, v11, v13
	s_mov_b32 s10, 0xb5ac
	v_mul_f16_e32 v28, 0x3b7b, v14
	v_fma_f16 v55, v24, s1, -v54
	v_add_f16_e32 v21, v21, v22
	v_mul_f16_e32 v22, 0xba95, v11
	v_mul_f16_e32 v56, 0xbb7b, v11
	v_fma_f16 v51, v26, s10, -v28
	v_add_f16_e32 v48, v48, v55
	v_fma_f16 v55, v21, s1, -v22
	v_fma_f16 v57, v21, s10, -v56
	s_mov_b32 s1, 0x388b3b15
	s_mov_b32 s10, 0xba95b770
	v_add_f16_e32 v17, v17, v19
	v_sub_f16_e32 v7, v7, v10
	v_pk_mul_f16 v10, v33, s1 op_sel_hi:[0,1]
	v_pk_mul_f16 v19, v20, s10 op_sel_hi:[0,1]
	s_mov_b32 s10, 0xb5ac388b
	s_mov_b32 s12, 0xbb7bba95
	v_add_f16_e32 v48, v57, v48
	v_add_f16_e32 v57, v10, v19
	v_pk_mul_f16 v59, v29, s10 op_sel_hi:[0,1]
	v_pk_mul_f16 v60, v15, s12 op_sel_hi:[0,1]
	v_add_f16_e32 v57, v1, v57
	v_pk_fma_f16 v58, v33, s1, v19 op_sel_hi:[0,1,1] neg_lo:[0,0,1] neg_hi:[0,0,1]
	v_add_f16_e32 v61, v59, v60
	v_pk_add_f16 v58, v1, v58 op_sel_hi:[0,1]
	v_add_f16_e32 v57, v57, v61
	v_pk_fma_f16 v61, v29, s10, v60 op_sel_hi:[0,1,1] neg_lo:[0,0,1] neg_hi:[0,0,1]
	s_mov_b32 s12, 0xbbc42fb7
	s_mov_b32 s13, 0xb3a8bbf1
	v_pk_add_f16 v58, v58, v61
	v_pk_mul_f16 v61, v26, s12 op_sel_hi:[0,1]
	v_pk_mul_f16 v62, v14, s13 op_sel_hi:[0,1]
	v_add_f16_e32 v63, v61, v62
	v_add_f16_e32 v57, v57, v63
	v_pk_fma_f16 v63, v26, s12, v62 op_sel_hi:[0,1,1] neg_lo:[0,0,1] neg_hi:[0,0,1]
	s_mov_b32 s13, 0xb9fdb5ac
	s_mov_b32 s14, 0x394ebb7b
	v_pk_add_f16 v58, v58, v63
	v_pk_mul_f16 v63, v24, s13 op_sel_hi:[0,1]
	v_pk_mul_f16 v64, v18, s14 op_sel_hi:[0,1]
	v_add_f16_e32 v65, v63, v64
	v_add_f16_e32 v57, v57, v65
	v_pk_fma_f16 v65, v24, s13, v64 op_sel_hi:[0,1,1] neg_lo:[0,0,1] neg_hi:[0,0,1]
	s_mov_b32 s14, 0x2fb7b9fd
	s_mov_b32 s15, 0x3bf1b94e
	v_pk_add_f16 v58, v58, v65
	v_pk_mul_f16 v65, v21, s14 op_sel_hi:[0,1]
	v_pk_mul_f16 v66, v11, s15 op_sel_hi:[0,1]
	v_add_f16_e32 v67, v65, v66
	v_add_f16_e32 v57, v67, v57
	v_pk_fma_f16 v67, v21, s14, v66 op_sel_hi:[0,1,1] neg_lo:[0,0,1] neg_hi:[0,0,1]
	s_mov_b32 s15, 0x3b15bbc4
	s_mov_b32 s16, 0x3770b3a8
	v_pk_add_f16 v58, v67, v58
	v_pk_mul_f16 v67, v17, s15 op_sel_hi:[0,1]
	v_pk_mul_f16 v68, v7, s16 op_sel_hi:[0,1]
	v_add_f16_e32 v70, v67, v68
	v_add_f16_e32 v57, v70, v57
	v_mul_f16_e32 v70, 0xb94e, v7
	v_add_f16_e32 v44, v34, v44
	v_mul_f16_e32 v31, 0x2fb7, v33
	v_mul_f16_e32 v34, 0xbbf1, v20
	v_fma_f16 v71, v17, s11, -v70
	s_mov_b32 s11, 0xffff
	v_mul_f16_e32 v27, 0xbbc4, v29
	v_bfi_b32 v10, s11, v31, v10
	v_bfi_b32 v19, s11, v34, v19
	v_pk_add_f16 v10, v10, v19
	v_bfi_b32 v19, s11, v27, v59
	v_bfi_b32 v27, s11, v32, v60
	v_mul_f16_e32 v23, 0xb5ac, v26
	v_pk_add_f16 v10, v1, v10 op_sel_hi:[0,1]
	v_pk_add_f16 v19, v19, v27
	v_mul_f16_e32 v12, 0x3b15, v24
	v_pk_add_f16 v10, v10, v19
	v_bfi_b32 v19, s11, v23, v61
	v_bfi_b32 v23, s11, v28, v62
	v_pk_add_f16 v19, v19, v23
	v_bfi_b32 v12, s11, v12, v63
	v_pk_add_f16 v10, v10, v19
	v_bfi_b32 v19, s11, v25, v64
	v_mul_f16_e32 v13, 0x388b, v21
	v_pk_add_f16 v12, v12, v19
	v_pk_fma_f16 v69, v17, s15, v68 op_sel_hi:[0,1,1] neg_lo:[0,0,1] neg_hi:[0,0,1]
	v_pk_add_f16 v10, v10, v12
	v_bfi_b32 v12, s11, v13, v65
	v_bfi_b32 v13, s11, v22, v66
	v_pk_add_f16 v58, v69, v58
	v_mul_f16_e32 v69, 0xb9fd, v17
	v_pk_add_f16 v12, v12, v13
	v_bfi_b32 v13, s11, v70, v68
	v_pk_add_f16 v10, v12, v10
	v_bfi_b32 v12, s11, v69, v67
	s_mov_b32 s16, 0xb94ebb7b
	v_pk_add_f16 v12, v12, v13
	v_pk_mul_f16 v13, v20, s16 op_sel_hi:[0,1]
	v_pk_add_f16 v12, v12, v10
	v_pk_mul_f16 v10, v33, s13 op_sel_hi:[0,1]
	v_pk_fma_f16 v20, v33, s13, v13 op_sel_hi:[0,1,1] neg_lo:[0,0,1] neg_hi:[0,0,1]
	s_mov_b32 s13, 0x3bf1394e
	v_add_f16_e32 v19, v10, v13
	v_pk_mul_f16 v22, v29, s14 op_sel_hi:[0,1]
	v_pk_mul_f16 v15, v15, s13 op_sel_hi:[0,1]
	s_movk_i32 s0, 0x2fb7
	v_add_f16_e32 v19, v1, v19
	v_add_f16_e32 v23, v22, v15
	v_fma_f16 v45, v33, s0, -v34
	v_mul_f16_e32 v46, 0xbbc4, v33
	v_pk_add_f16 v20, v1, v20 op_sel_hi:[0,1]
	v_add_f16_e32 v19, v19, v23
	v_pk_fma_f16 v23, v29, s14, v15 op_sel_hi:[0,1,1] neg_lo:[0,0,1] neg_hi:[0,0,1]
	s_mov_b32 s13, 0xba953770
	v_add_f16_e32 v45, v1, v45
	v_pk_add_f16 v20, v20, v23
	v_pk_mul_f16 v23, v26, s1 op_sel_hi:[0,1]
	v_pk_mul_f16 v14, v14, s13 op_sel_hi:[0,1]
	v_bfi_b32 v10, s11, v46, v10
	v_bfi_b32 v13, s11, v47, v13
	v_add_f16_e32 v45, v45, v49
	v_mul_f16_e32 v49, 0x3b15, v29
	v_add_f16_e32 v25, v23, v14
	v_pk_add_f16 v10, v10, v13
	v_add_f16_e32 v19, v19, v25
	v_pk_fma_f16 v25, v26, s1, v14 op_sel_hi:[0,1,1] neg_lo:[0,0,1] neg_hi:[0,0,1]
	s_mov_b32 s1, 0x33a8bbf1
	v_pk_add_f16 v1, v1, v10 op_sel_hi:[0,1]
	v_bfi_b32 v10, s11, v49, v22
	v_bfi_b32 v13, s11, v50, v15
	v_add_f16_e32 v45, v45, v51
	v_mul_f16_e32 v51, 0xb9fd, v26
	v_pk_mul_f16 v18, v18, s1 op_sel_hi:[0,1]
	v_pk_add_f16 v10, v10, v13
	v_add_f16_e32 v45, v45, v53
	v_mul_f16_e32 v53, 0x388b, v24
	v_pk_add_f16 v20, v20, v25
	v_pk_mul_f16 v25, v24, s12 op_sel_hi:[0,1]
	v_pk_fma_f16 v24, v24, s12, v18 op_sel_hi:[0,1,1] neg_lo:[0,0,1] neg_hi:[0,0,1]
	s_mov_b32 s1, 0x377033a8
	v_pk_add_f16 v1, v1, v10
	v_bfi_b32 v10, s11, v51, v23
	v_bfi_b32 v13, s11, v52, v14
	v_add_f16_e32 v26, v25, v18
	v_pk_add_f16 v20, v20, v24
	v_pk_mul_f16 v24, v21, s15 op_sel_hi:[0,1]
	v_pk_mul_f16 v11, v11, s1 op_sel_hi:[0,1]
	v_pk_add_f16 v10, v10, v13
	v_add_f16_e32 v45, v55, v45
	v_mul_f16_e32 v55, 0xb5ac, v21
	v_add_f16_e32 v19, v19, v26
	v_add_f16_e32 v26, v24, v11
	v_pk_fma_f16 v21, v21, s15, v11 op_sel_hi:[0,1,1] neg_lo:[0,0,1] neg_hi:[0,0,1]
	s_mov_b32 s1, 0xbb7b3a95
	v_pk_add_f16 v1, v1, v10
	v_bfi_b32 v10, s11, v53, v25
	v_bfi_b32 v13, s11, v54, v18
	v_add_f16_e32 v19, v26, v19
	v_pk_add_f16 v20, v21, v20
	v_pk_mul_f16 v21, v17, s10 op_sel_hi:[0,1]
	v_pk_mul_f16 v26, v7, s1 op_sel_hi:[0,1]
	v_pk_add_f16 v10, v10, v13
	v_add_f16_e32 v28, v21, v26
	v_pk_add_f16 v1, v1, v10
	v_bfi_b32 v10, s11, v55, v24
	v_bfi_b32 v11, s11, v56, v11
	v_add_f16_e32 v28, v28, v19
	v_mul_f16_e32 v19, 0x2fb7, v17
	v_mul_f16_e32 v7, 0x3bf1, v7
	v_pk_add_f16 v10, v10, v11
	v_pk_fma_f16 v27, v17, s10, v26 op_sel_hi:[0,1,1] neg_lo:[0,0,1] neg_hi:[0,0,1]
	v_fma_f16 v17, v17, s0, -v7
	v_pk_add_f16 v1, v10, v1
	v_bfi_b32 v10, s11, v19, v21
	v_bfi_b32 v7, s11, v7, v26
	v_pk_add_f16 v7, v10, v7
	v_add_f16_e32 v45, v71, v45
	v_add_f16_e32 v17, v17, v48
	v_pk_add_f16 v1, v7, v1
	v_mul_u32_u24_e32 v7, 24, v6
	v_pk_add_f16 v20, v27, v20
	v_add3_u32 v7, v43, v7, v8
	v_alignbit_b32 v19, v45, v58, 16
	v_pack_b32_f16 v18, v44, v58
	v_alignbit_b32 v11, v28, v1, 16
	v_pack_b32_f16 v10, v17, v1
	ds_write_b96 v7, v[18:20]
	ds_write_b96 v7, v[10:12] offset:12
	ds_write_b16 v7, v57 offset:24
.LBB0_17:
	s_or_b64 exec, exec, s[4:5]
	s_waitcnt lgkmcnt(0)
	; wave barrier
	s_waitcnt lgkmcnt(0)
	s_and_saveexec_b64 s[0:1], vcc
	s_cbranch_execz .LBB0_19
; %bb.18:
	v_lshlrev_b32_e32 v6, 3, v6
	v_mov_b32_e32 v7, 0
	v_lshl_add_u64 v[14:15], v[6:7], 2, s[8:9]
	global_load_dwordx4 v[10:13], v[14:15], off
	global_load_dwordx4 v[18:21], v[14:15], off offset:16
	ds_read_u16 v8, v42 offset:208
	ds_read_u16 v14, v42 offset:182
	ds_read_u16 v15, v42 offset:52
	ds_read_u16 v17, v42 offset:78
	ds_read_u16 v22, v42 offset:104
	ds_read_u16 v23, v42 offset:156
	ds_read_u16 v24, v42 offset:130
	ds_read_u16 v25, v42 offset:26
	ds_read_u16 v26, v41
	v_mul_lo_u32 v1, s3, v4
	v_mul_lo_u32 v6, s2, v5
	v_mad_u64_u32 v[4:5], s[0:1], s2, v4, 0
	v_add3_u32 v5, v5, v6, v1
	s_mov_b32 s1, 0xb924
	s_movk_i32 s4, 0x3a21
	s_movk_i32 s0, 0x3be1
	s_movk_i32 s5, 0x318f
	s_movk_i32 s2, 0x3aee
	s_movk_i32 s3, 0x3579
	s_mov_b32 s8, 0xbb84
	v_lshl_add_u64 v[4:5], v[4:5], 2, s[6:7]
	v_lshl_add_u64 v[2:3], v[2:3], 2, v[4:5]
	s_waitcnt vmcnt(1)
	v_mul_f16_sdwa v1, v16, v10 dst_sel:DWORD dst_unused:UNUSED_PAD src0_sel:DWORD src1_sel:WORD_1
	s_waitcnt vmcnt(0)
	v_mul_f16_sdwa v6, v37, v21 dst_sel:DWORD dst_unused:UNUSED_PAD src0_sel:DWORD src1_sel:WORD_1
	v_mul_f16_sdwa v29, v35, v11 dst_sel:DWORD dst_unused:UNUSED_PAD src0_sel:DWORD src1_sel:WORD_1
	v_mul_f16_sdwa v31, v40, v20 dst_sel:DWORD dst_unused:UNUSED_PAD src0_sel:DWORD src1_sel:WORD_1
	v_mul_f16_sdwa v27, v30, v12 dst_sel:DWORD dst_unused:UNUSED_PAD src0_sel:DWORD src1_sel:WORD_1
	v_mul_f16_sdwa v28, v36, v19 dst_sel:DWORD dst_unused:UNUSED_PAD src0_sel:DWORD src1_sel:WORD_1
	s_waitcnt lgkmcnt(7)
	v_mul_f16_sdwa v42, v14, v20 dst_sel:DWORD dst_unused:UNUSED_PAD src0_sel:DWORD src1_sel:WORD_1
	s_waitcnt lgkmcnt(6)
	v_mul_f16_sdwa v43, v15, v11 dst_sel:DWORD dst_unused:UNUSED_PAD src0_sel:DWORD src1_sel:WORD_1
	;; [unrolled: 2-line block ×3, first 2 shown]
	v_fma_f16 v1, v25, v10, -v1
	v_fma_f16 v6, v8, v21, -v6
	v_fma_f16 v15, v15, v11, -v29
	v_fma_f16 v14, v14, v20, -v31
	v_mul_f16_sdwa v32, v38, v13 dst_sel:DWORD dst_unused:UNUSED_PAD src0_sel:DWORD src1_sel:WORD_1
	v_mul_f16_sdwa v33, v39, v18 dst_sel:DWORD dst_unused:UNUSED_PAD src0_sel:DWORD src1_sel:WORD_1
	;; [unrolled: 1-line block ×4, first 2 shown]
	v_fma_f16 v8, v17, v12, -v27
	v_fma_f16 v17, v23, v19, -v28
	v_fma_f16 v10, v16, v10, v47
	v_sub_f16_e32 v16, v1, v6
	v_sub_f16_e32 v25, v15, v14
	v_add_f16_e32 v14, v15, v14
	v_add_f16_e32 v1, v1, v6
	v_mul_f16_sdwa v34, v24, v18 dst_sel:DWORD dst_unused:UNUSED_PAD src0_sel:DWORD src1_sel:WORD_1
	v_mul_f16_sdwa v41, v22, v13 dst_sel:DWORD dst_unused:UNUSED_PAD src0_sel:DWORD src1_sel:WORD_1
	v_mul_f16_sdwa v44, v23, v19 dst_sel:DWORD dst_unused:UNUSED_PAD src0_sel:DWORD src1_sel:WORD_1
	v_fma_f16 v22, v22, v13, -v32
	v_fma_f16 v23, v24, v18, -v33
	v_sub_f16_e32 v24, v8, v17
	v_add_f16_e32 v8, v8, v17
	v_add_f16_e32 v32, v1, v14
	v_fma_f16 v20, v40, v20, v42
	v_fma_f16 v11, v35, v11, v43
	;; [unrolled: 1-line block ×3, first 2 shown]
	v_add_f16_e32 v33, v8, v32
	v_fma_f16 v19, v36, v19, v44
	v_fma_f16 v12, v30, v12, v45
	v_sub_f16_e32 v27, v22, v23
	v_add_f16_e32 v29, v11, v20
	v_add_f16_e32 v31, v10, v21
	;; [unrolled: 1-line block ×7, first 2 shown]
	v_fma_f16 v18, v39, v18, v34
	v_fma_f16 v13, v38, v13, v41
	v_add_f16_e32 v33, v30, v23
	v_add_f16_e32 v28, v13, v18
	v_sub_f16_e32 v12, v12, v19
	v_sub_f16_e32 v19, v13, v18
	v_add_f16_e32 v13, v33, v13
	v_add_f16_e32 v13, v13, v18
	;; [unrolled: 1-line block ×4, first 2 shown]
	v_sub_f16_e32 v11, v11, v20
	v_mul_f16_e32 v6, 0x3be1, v27
	v_mul_f16_e32 v20, 0x3be1, v19
	v_fma_f16 v18, v23, -0.5, v18
	v_add_f16_e32 v23, v16, v27
	v_fma_f16 v6, v25, s1, -v6
	v_fma_f16 v20, v11, s1, -v20
	v_sub_f16_e32 v23, v23, v25
	s_mov_b32 s1, 0xbaee
	v_sub_f16_e32 v10, v10, v21
	s_waitcnt lgkmcnt(0)
	v_fma_f16 v21, v14, s4, v26
	v_mul_f16_e32 v33, 0x3aee, v23
	v_fma_f16 v18, v23, s1, v18
	v_add_f16_e32 v35, v8, v26
	v_add_f16_e32 v32, v32, v15
	v_mul_f16_e32 v36, 0xb924, v19
	v_fma_f16 v21, v15, s5, v21
	v_fma_f16 v23, v33, 2.0, v18
	v_add_f16_e32 v33, v10, v19
	v_fma_f16 v32, v32, -0.5, v35
	v_mul_f16_e32 v35, 0xb924, v27
	v_fma_f16 v36, v10, s0, v36
	v_fma_f16 v21, v8, -0.5, v21
	v_sub_f16_e32 v33, v33, v11
	v_fma_f16 v35, v16, s0, v35
	v_fma_f16 v36, v12, s1, v36
	;; [unrolled: 1-line block ×5, first 2 shown]
	v_mul_f16_e32 v34, 0x3aee, v33
	v_fma_f16 v32, v33, s2, v32
	v_fma_f16 v35, v24, s1, v35
	;; [unrolled: 1-line block ×4, first 2 shown]
	s_movk_i32 s0, 0x3924
	v_mul_f16_e32 v11, 0x3be1, v11
	v_fma_f16 v1, v1, s4, v26
	v_fma_f16 v17, v29, s4, v9
	v_fma_f16 v6, v24, s2, v6
	v_fma_f16 v20, v10, s3, v20
	v_add_f16_e32 v13, v9, v13
	v_fma_f16 v33, v34, -2.0, v32
	v_fma_f16 v34, v28, s4, v9
	v_fma_f16 v35, v25, s3, v35
	v_mul_f16_e32 v25, 0x3be1, v25
	v_fma_f16 v9, v31, s4, v9
	v_fma_f16 v10, v10, s0, v11
	;; [unrolled: 1-line block ×7, first 2 shown]
	v_fma_f16 v1, v8, -0.5, v1
	v_fma_f16 v34, v31, s5, v34
	v_fma_f16 v16, v24, s2, v16
	v_fma_f16 v9, v30, -0.5, v9
	v_fma_f16 v10, v19, s3, v10
	v_fma_f16 v1, v15, s8, v1
	v_add_f16_e32 v22, v26, v22
	v_fma_f16 v34, v30, -0.5, v34
	v_fma_f16 v37, v8, -0.5, v37
	v_fma_f16 v16, v27, s3, v16
	v_fma_f16 v9, v28, s8, v9
	v_add_f16_e32 v8, v10, v1
	v_mov_b32_e32 v1, v7
	v_fma_f16 v17, v28, s5, v17
	v_fma_f16 v34, v29, s8, v34
	;; [unrolled: 1-line block ×3, first 2 shown]
	v_sub_f16_e32 v9, v9, v16
	v_lshl_add_u64 v[0:1], v[0:1], 2, v[2:3]
	v_pack_b32_f16 v2, v13, v22
	v_fma_f16 v17, v30, -0.5, v17
	v_sub_f16_e32 v34, v34, v35
	v_add_f16_e32 v37, v36, v37
	global_store_dword v[0:1], v2, off
	v_pack_b32_f16 v2, v9, v8
	v_fma_f16 v17, v31, s8, v17
	global_store_dword v[0:1], v2, off offset:52
	v_pack_b32_f16 v2, v34, v37
	v_sub_f16_e32 v17, v17, v6
	v_add_f16_e32 v21, v20, v21
	global_store_dword v[0:1], v2, off offset:104
	v_pack_b32_f16 v2, v18, v32
	v_fma_f16 v6, v6, 2.0, v17
	v_fma_f16 v20, v20, -2.0, v21
	global_store_dword v[0:1], v2, off offset:156
	v_pack_b32_f16 v2, v17, v21
	global_store_dword v[0:1], v2, off offset:208
	v_pack_b32_f16 v2, v6, v20
	v_fma_f16 v35, v35, 2.0, v34
	v_fma_f16 v36, v36, -2.0, v37
	global_store_dword v[0:1], v2, off offset:260
	v_pack_b32_f16 v2, v23, v33
	v_fma_f16 v16, v16, 2.0, v9
	v_fma_f16 v10, v10, -2.0, v8
	global_store_dword v[0:1], v2, off offset:312
	v_pack_b32_f16 v2, v35, v36
	global_store_dword v[0:1], v2, off offset:364
	v_pack_b32_f16 v2, v16, v10
	global_store_dword v[0:1], v2, off offset:416
.LBB0_19:
	s_endpgm
	.section	.rodata,"a",@progbits
	.p2align	6, 0x0
	.amdhsa_kernel fft_rtc_back_len117_factors_13_9_wgs_52_tpt_13_halfLds_half_op_CI_CI_unitstride_sbrr_dirReg
		.amdhsa_group_segment_fixed_size 0
		.amdhsa_private_segment_fixed_size 0
		.amdhsa_kernarg_size 104
		.amdhsa_user_sgpr_count 2
		.amdhsa_user_sgpr_dispatch_ptr 0
		.amdhsa_user_sgpr_queue_ptr 0
		.amdhsa_user_sgpr_kernarg_segment_ptr 1
		.amdhsa_user_sgpr_dispatch_id 0
		.amdhsa_user_sgpr_kernarg_preload_length 0
		.amdhsa_user_sgpr_kernarg_preload_offset 0
		.amdhsa_user_sgpr_private_segment_size 0
		.amdhsa_uses_dynamic_stack 0
		.amdhsa_enable_private_segment 0
		.amdhsa_system_sgpr_workgroup_id_x 1
		.amdhsa_system_sgpr_workgroup_id_y 0
		.amdhsa_system_sgpr_workgroup_id_z 0
		.amdhsa_system_sgpr_workgroup_info 0
		.amdhsa_system_vgpr_workitem_id 0
		.amdhsa_next_free_vgpr 80
		.amdhsa_next_free_sgpr 28
		.amdhsa_accum_offset 80
		.amdhsa_reserve_vcc 1
		.amdhsa_float_round_mode_32 0
		.amdhsa_float_round_mode_16_64 0
		.amdhsa_float_denorm_mode_32 3
		.amdhsa_float_denorm_mode_16_64 3
		.amdhsa_dx10_clamp 1
		.amdhsa_ieee_mode 1
		.amdhsa_fp16_overflow 0
		.amdhsa_tg_split 0
		.amdhsa_exception_fp_ieee_invalid_op 0
		.amdhsa_exception_fp_denorm_src 0
		.amdhsa_exception_fp_ieee_div_zero 0
		.amdhsa_exception_fp_ieee_overflow 0
		.amdhsa_exception_fp_ieee_underflow 0
		.amdhsa_exception_fp_ieee_inexact 0
		.amdhsa_exception_int_div_zero 0
	.end_amdhsa_kernel
	.text
.Lfunc_end0:
	.size	fft_rtc_back_len117_factors_13_9_wgs_52_tpt_13_halfLds_half_op_CI_CI_unitstride_sbrr_dirReg, .Lfunc_end0-fft_rtc_back_len117_factors_13_9_wgs_52_tpt_13_halfLds_half_op_CI_CI_unitstride_sbrr_dirReg
                                        ; -- End function
	.section	.AMDGPU.csdata,"",@progbits
; Kernel info:
; codeLenInByte = 6152
; NumSgprs: 34
; NumVgprs: 80
; NumAgprs: 0
; TotalNumVgprs: 80
; ScratchSize: 0
; MemoryBound: 0
; FloatMode: 240
; IeeeMode: 1
; LDSByteSize: 0 bytes/workgroup (compile time only)
; SGPRBlocks: 4
; VGPRBlocks: 9
; NumSGPRsForWavesPerEU: 34
; NumVGPRsForWavesPerEU: 80
; AccumOffset: 80
; Occupancy: 6
; WaveLimiterHint : 1
; COMPUTE_PGM_RSRC2:SCRATCH_EN: 0
; COMPUTE_PGM_RSRC2:USER_SGPR: 2
; COMPUTE_PGM_RSRC2:TRAP_HANDLER: 0
; COMPUTE_PGM_RSRC2:TGID_X_EN: 1
; COMPUTE_PGM_RSRC2:TGID_Y_EN: 0
; COMPUTE_PGM_RSRC2:TGID_Z_EN: 0
; COMPUTE_PGM_RSRC2:TIDIG_COMP_CNT: 0
; COMPUTE_PGM_RSRC3_GFX90A:ACCUM_OFFSET: 19
; COMPUTE_PGM_RSRC3_GFX90A:TG_SPLIT: 0
	.text
	.p2alignl 6, 3212836864
	.fill 256, 4, 3212836864
	.type	__hip_cuid_391df523594f36f5,@object ; @__hip_cuid_391df523594f36f5
	.section	.bss,"aw",@nobits
	.globl	__hip_cuid_391df523594f36f5
__hip_cuid_391df523594f36f5:
	.byte	0                               ; 0x0
	.size	__hip_cuid_391df523594f36f5, 1

	.ident	"AMD clang version 19.0.0git (https://github.com/RadeonOpenCompute/llvm-project roc-6.4.0 25133 c7fe45cf4b819c5991fe208aaa96edf142730f1d)"
	.section	".note.GNU-stack","",@progbits
	.addrsig
	.addrsig_sym __hip_cuid_391df523594f36f5
	.amdgpu_metadata
---
amdhsa.kernels:
  - .agpr_count:     0
    .args:
      - .actual_access:  read_only
        .address_space:  global
        .offset:         0
        .size:           8
        .value_kind:     global_buffer
      - .offset:         8
        .size:           8
        .value_kind:     by_value
      - .actual_access:  read_only
        .address_space:  global
        .offset:         16
        .size:           8
        .value_kind:     global_buffer
      - .actual_access:  read_only
        .address_space:  global
        .offset:         24
        .size:           8
        .value_kind:     global_buffer
      - .actual_access:  read_only
        .address_space:  global
        .offset:         32
        .size:           8
        .value_kind:     global_buffer
      - .offset:         40
        .size:           8
        .value_kind:     by_value
      - .actual_access:  read_only
        .address_space:  global
        .offset:         48
        .size:           8
        .value_kind:     global_buffer
      - .actual_access:  read_only
        .address_space:  global
        .offset:         56
        .size:           8
        .value_kind:     global_buffer
      - .offset:         64
        .size:           4
        .value_kind:     by_value
      - .actual_access:  read_only
        .address_space:  global
        .offset:         72
        .size:           8
        .value_kind:     global_buffer
      - .actual_access:  read_only
        .address_space:  global
        .offset:         80
        .size:           8
        .value_kind:     global_buffer
      - .actual_access:  read_only
        .address_space:  global
        .offset:         88
        .size:           8
        .value_kind:     global_buffer
      - .actual_access:  write_only
        .address_space:  global
        .offset:         96
        .size:           8
        .value_kind:     global_buffer
    .group_segment_fixed_size: 0
    .kernarg_segment_align: 8
    .kernarg_segment_size: 104
    .language:       OpenCL C
    .language_version:
      - 2
      - 0
    .max_flat_workgroup_size: 52
    .name:           fft_rtc_back_len117_factors_13_9_wgs_52_tpt_13_halfLds_half_op_CI_CI_unitstride_sbrr_dirReg
    .private_segment_fixed_size: 0
    .sgpr_count:     34
    .sgpr_spill_count: 0
    .symbol:         fft_rtc_back_len117_factors_13_9_wgs_52_tpt_13_halfLds_half_op_CI_CI_unitstride_sbrr_dirReg.kd
    .uniform_work_group_size: 1
    .uses_dynamic_stack: false
    .vgpr_count:     80
    .vgpr_spill_count: 0
    .wavefront_size: 64
amdhsa.target:   amdgcn-amd-amdhsa--gfx950
amdhsa.version:
  - 1
  - 2
...

	.end_amdgpu_metadata
